;; amdgpu-corpus repo=ROCm/rocFFT kind=compiled arch=gfx906 opt=O3
	.text
	.amdgcn_target "amdgcn-amd-amdhsa--gfx906"
	.amdhsa_code_object_version 6
	.protected	fft_rtc_fwd_len250_factors_10_5_5_wgs_125_tpt_25_halfLds_dp_op_CI_CI_unitstride_sbrr_C2R_dirReg ; -- Begin function fft_rtc_fwd_len250_factors_10_5_5_wgs_125_tpt_25_halfLds_dp_op_CI_CI_unitstride_sbrr_C2R_dirReg
	.globl	fft_rtc_fwd_len250_factors_10_5_5_wgs_125_tpt_25_halfLds_dp_op_CI_CI_unitstride_sbrr_C2R_dirReg
	.p2align	8
	.type	fft_rtc_fwd_len250_factors_10_5_5_wgs_125_tpt_25_halfLds_dp_op_CI_CI_unitstride_sbrr_C2R_dirReg,@function
fft_rtc_fwd_len250_factors_10_5_5_wgs_125_tpt_25_halfLds_dp_op_CI_CI_unitstride_sbrr_C2R_dirReg: ; @fft_rtc_fwd_len250_factors_10_5_5_wgs_125_tpt_25_halfLds_dp_op_CI_CI_unitstride_sbrr_C2R_dirReg
; %bb.0:
	s_load_dwordx4 s[8:11], s[4:5], 0x58
	s_load_dwordx4 s[12:15], s[4:5], 0x0
	;; [unrolled: 1-line block ×3, first 2 shown]
	v_mul_u32_u24_e32 v1, 0xa3e, v0
	v_lshrrev_b32_e32 v1, 16, v1
	v_mad_u64_u32 v[3:4], s[0:1], s6, 5, v[1:2]
	v_mov_b32_e32 v5, 0
	v_mov_b32_e32 v1, 0
	;; [unrolled: 1-line block ×3, first 2 shown]
	s_waitcnt lgkmcnt(0)
	v_cmp_lt_u64_e64 s[0:1], s[14:15], 2
	v_mov_b32_e32 v2, 0
	v_mov_b32_e32 v27, v2
	;; [unrolled: 1-line block ×3, first 2 shown]
	s_and_b64 vcc, exec, s[0:1]
	v_mov_b32_e32 v26, v1
	v_mov_b32_e32 v28, v3
	s_cbranch_vccnz .LBB0_8
; %bb.1:
	s_load_dwordx2 s[0:1], s[4:5], 0x10
	s_add_u32 s2, s18, 8
	s_addc_u32 s3, s19, 0
	s_add_u32 s6, s16, 8
	v_mov_b32_e32 v1, 0
	s_addc_u32 s7, s17, 0
	v_mov_b32_e32 v2, 0
	s_waitcnt lgkmcnt(0)
	s_add_u32 s20, s0, 8
	v_mov_b32_e32 v27, v2
	v_mov_b32_e32 v8, v4
	s_addc_u32 s21, s1, 0
	s_mov_b64 s[22:23], 1
	v_mov_b32_e32 v26, v1
	v_mov_b32_e32 v7, v3
.LBB0_2:                                ; =>This Inner Loop Header: Depth=1
	s_load_dwordx2 s[24:25], s[20:21], 0x0
                                        ; implicit-def: $vgpr28_vgpr29
	s_waitcnt lgkmcnt(0)
	v_or_b32_e32 v6, s25, v8
	v_cmp_ne_u64_e32 vcc, 0, v[5:6]
	s_and_saveexec_b64 s[0:1], vcc
	s_xor_b64 s[26:27], exec, s[0:1]
	s_cbranch_execz .LBB0_4
; %bb.3:                                ;   in Loop: Header=BB0_2 Depth=1
	v_cvt_f32_u32_e32 v4, s24
	v_cvt_f32_u32_e32 v6, s25
	s_sub_u32 s0, 0, s24
	s_subb_u32 s1, 0, s25
	v_mac_f32_e32 v4, 0x4f800000, v6
	v_rcp_f32_e32 v4, v4
	v_mul_f32_e32 v4, 0x5f7ffffc, v4
	v_mul_f32_e32 v6, 0x2f800000, v4
	v_trunc_f32_e32 v6, v6
	v_mac_f32_e32 v4, 0xcf800000, v6
	v_cvt_u32_f32_e32 v6, v6
	v_cvt_u32_f32_e32 v4, v4
	v_mul_lo_u32 v9, s0, v6
	v_mul_hi_u32 v10, s0, v4
	v_mul_lo_u32 v12, s1, v4
	v_mul_lo_u32 v11, s0, v4
	v_add_u32_e32 v9, v10, v9
	v_add_u32_e32 v9, v9, v12
	v_mul_hi_u32 v10, v4, v11
	v_mul_lo_u32 v12, v4, v9
	v_mul_hi_u32 v14, v4, v9
	v_mul_hi_u32 v13, v6, v11
	v_mul_lo_u32 v11, v6, v11
	v_mul_hi_u32 v15, v6, v9
	v_add_co_u32_e32 v10, vcc, v10, v12
	v_addc_co_u32_e32 v12, vcc, 0, v14, vcc
	v_mul_lo_u32 v9, v6, v9
	v_add_co_u32_e32 v10, vcc, v10, v11
	v_addc_co_u32_e32 v10, vcc, v12, v13, vcc
	v_addc_co_u32_e32 v11, vcc, 0, v15, vcc
	v_add_co_u32_e32 v9, vcc, v10, v9
	v_addc_co_u32_e32 v10, vcc, 0, v11, vcc
	v_add_co_u32_e32 v4, vcc, v4, v9
	v_addc_co_u32_e32 v6, vcc, v6, v10, vcc
	v_mul_lo_u32 v9, s0, v6
	v_mul_hi_u32 v10, s0, v4
	v_mul_lo_u32 v11, s1, v4
	v_mul_lo_u32 v12, s0, v4
	v_add_u32_e32 v9, v10, v9
	v_add_u32_e32 v9, v9, v11
	v_mul_lo_u32 v13, v4, v9
	v_mul_hi_u32 v14, v4, v12
	v_mul_hi_u32 v15, v4, v9
	;; [unrolled: 1-line block ×3, first 2 shown]
	v_mul_lo_u32 v12, v6, v12
	v_mul_hi_u32 v10, v6, v9
	v_add_co_u32_e32 v13, vcc, v14, v13
	v_addc_co_u32_e32 v14, vcc, 0, v15, vcc
	v_mul_lo_u32 v9, v6, v9
	v_add_co_u32_e32 v12, vcc, v13, v12
	v_addc_co_u32_e32 v11, vcc, v14, v11, vcc
	v_addc_co_u32_e32 v10, vcc, 0, v10, vcc
	v_add_co_u32_e32 v9, vcc, v11, v9
	v_addc_co_u32_e32 v10, vcc, 0, v10, vcc
	v_add_co_u32_e32 v4, vcc, v4, v9
	v_addc_co_u32_e32 v6, vcc, v6, v10, vcc
	v_mad_u64_u32 v[9:10], s[0:1], v7, v6, 0
	v_mul_hi_u32 v11, v7, v4
	v_add_co_u32_e32 v13, vcc, v11, v9
	v_addc_co_u32_e32 v14, vcc, 0, v10, vcc
	v_mad_u64_u32 v[9:10], s[0:1], v8, v4, 0
	v_mad_u64_u32 v[11:12], s[0:1], v8, v6, 0
	v_add_co_u32_e32 v4, vcc, v13, v9
	v_addc_co_u32_e32 v4, vcc, v14, v10, vcc
	v_addc_co_u32_e32 v6, vcc, 0, v12, vcc
	v_add_co_u32_e32 v4, vcc, v4, v11
	v_addc_co_u32_e32 v6, vcc, 0, v6, vcc
	v_mul_lo_u32 v11, s25, v4
	v_mul_lo_u32 v12, s24, v6
	v_mad_u64_u32 v[9:10], s[0:1], s24, v4, 0
	v_add3_u32 v10, v10, v12, v11
	v_sub_u32_e32 v11, v8, v10
	v_mov_b32_e32 v12, s25
	v_sub_co_u32_e32 v9, vcc, v7, v9
	v_subb_co_u32_e64 v11, s[0:1], v11, v12, vcc
	v_subrev_co_u32_e64 v12, s[0:1], s24, v9
	v_subbrev_co_u32_e64 v11, s[0:1], 0, v11, s[0:1]
	v_cmp_le_u32_e64 s[0:1], s25, v11
	v_cndmask_b32_e64 v13, 0, -1, s[0:1]
	v_cmp_le_u32_e64 s[0:1], s24, v12
	v_cndmask_b32_e64 v12, 0, -1, s[0:1]
	v_cmp_eq_u32_e64 s[0:1], s25, v11
	v_cndmask_b32_e64 v11, v13, v12, s[0:1]
	v_add_co_u32_e64 v12, s[0:1], 2, v4
	v_addc_co_u32_e64 v13, s[0:1], 0, v6, s[0:1]
	v_add_co_u32_e64 v14, s[0:1], 1, v4
	v_addc_co_u32_e64 v15, s[0:1], 0, v6, s[0:1]
	v_subb_co_u32_e32 v10, vcc, v8, v10, vcc
	v_cmp_ne_u32_e64 s[0:1], 0, v11
	v_cmp_le_u32_e32 vcc, s25, v10
	v_cndmask_b32_e64 v11, v15, v13, s[0:1]
	v_cndmask_b32_e64 v13, 0, -1, vcc
	v_cmp_le_u32_e32 vcc, s24, v9
	v_cndmask_b32_e64 v9, 0, -1, vcc
	v_cmp_eq_u32_e32 vcc, s25, v10
	v_cndmask_b32_e32 v9, v13, v9, vcc
	v_cmp_ne_u32_e32 vcc, 0, v9
	v_cndmask_b32_e32 v29, v6, v11, vcc
	v_cndmask_b32_e64 v6, v14, v12, s[0:1]
	v_cndmask_b32_e32 v28, v4, v6, vcc
.LBB0_4:                                ;   in Loop: Header=BB0_2 Depth=1
	s_andn2_saveexec_b64 s[0:1], s[26:27]
	s_cbranch_execz .LBB0_6
; %bb.5:                                ;   in Loop: Header=BB0_2 Depth=1
	v_cvt_f32_u32_e32 v4, s24
	s_sub_i32 s26, 0, s24
	v_mov_b32_e32 v29, v5
	v_rcp_iflag_f32_e32 v4, v4
	v_mul_f32_e32 v4, 0x4f7ffffe, v4
	v_cvt_u32_f32_e32 v4, v4
	v_mul_lo_u32 v6, s26, v4
	v_mul_hi_u32 v6, v4, v6
	v_add_u32_e32 v4, v4, v6
	v_mul_hi_u32 v4, v7, v4
	v_mul_lo_u32 v6, v4, s24
	v_add_u32_e32 v9, 1, v4
	v_sub_u32_e32 v6, v7, v6
	v_subrev_u32_e32 v10, s24, v6
	v_cmp_le_u32_e32 vcc, s24, v6
	v_cndmask_b32_e32 v6, v6, v10, vcc
	v_cndmask_b32_e32 v4, v4, v9, vcc
	v_add_u32_e32 v9, 1, v4
	v_cmp_le_u32_e32 vcc, s24, v6
	v_cndmask_b32_e32 v28, v4, v9, vcc
.LBB0_6:                                ;   in Loop: Header=BB0_2 Depth=1
	s_or_b64 exec, exec, s[0:1]
	v_mul_lo_u32 v4, v29, s24
	v_mul_lo_u32 v6, v28, s25
	v_mad_u64_u32 v[9:10], s[0:1], v28, s24, 0
	s_load_dwordx2 s[0:1], s[6:7], 0x0
	s_load_dwordx2 s[24:25], s[2:3], 0x0
	v_add3_u32 v4, v10, v6, v4
	v_sub_co_u32_e32 v6, vcc, v7, v9
	v_subb_co_u32_e32 v4, vcc, v8, v4, vcc
	s_waitcnt lgkmcnt(0)
	v_mul_lo_u32 v7, s0, v4
	v_mul_lo_u32 v8, s1, v6
	v_mad_u64_u32 v[1:2], s[0:1], s0, v6, v[1:2]
	s_add_u32 s22, s22, 1
	s_addc_u32 s23, s23, 0
	s_add_u32 s2, s2, 8
	v_mul_lo_u32 v4, s24, v4
	v_mul_lo_u32 v9, s25, v6
	v_mad_u64_u32 v[26:27], s[0:1], s24, v6, v[26:27]
	v_add3_u32 v2, v8, v2, v7
	s_addc_u32 s3, s3, 0
	v_mov_b32_e32 v6, s14
	s_add_u32 s6, s6, 8
	v_mov_b32_e32 v7, s15
	s_addc_u32 s7, s7, 0
	v_cmp_ge_u64_e32 vcc, s[22:23], v[6:7]
	s_add_u32 s20, s20, 8
	v_add3_u32 v27, v9, v27, v4
	s_addc_u32 s21, s21, 0
	s_cbranch_vccnz .LBB0_8
; %bb.7:                                ;   in Loop: Header=BB0_2 Depth=1
	v_mov_b32_e32 v7, v28
	v_mov_b32_e32 v8, v29
	s_branch .LBB0_2
.LBB0_8:
	s_mov_b32 s2, 0xcccccccd
	s_load_dwordx2 s[0:1], s[4:5], 0x28
	v_mul_hi_u32 v4, v3, s2
	s_lshl_b64 s[6:7], s[14:15], 3
	s_add_u32 s2, s18, s6
	s_addc_u32 s3, s19, s7
	v_lshrrev_b32_e32 v4, 2, v4
	v_lshl_add_u32 v4, v4, 2, v4
	s_waitcnt lgkmcnt(0)
	v_cmp_gt_u64_e32 vcc, s[0:1], v[28:29]
	v_cmp_le_u64_e64 s[0:1], s[0:1], v[28:29]
	v_sub_u32_e32 v3, v3, v4
                                        ; implicit-def: $vgpr30
	s_and_saveexec_b64 s[4:5], s[0:1]
	s_xor_b64 s[0:1], exec, s[4:5]
; %bb.9:
	s_mov_b32 s4, 0xa3d70a4
	v_mul_hi_u32 v1, v0, s4
	v_mul_u32_u24_e32 v1, 25, v1
	v_sub_u32_e32 v30, v0, v1
                                        ; implicit-def: $vgpr0
                                        ; implicit-def: $vgpr1_vgpr2
; %bb.10:
	s_or_saveexec_b64 s[4:5], s[0:1]
	s_load_dwordx2 s[2:3], s[2:3], 0x0
	v_mul_u32_u24_e32 v3, 0xfb, v3
	v_lshlrev_b32_e32 v50, 4, v3
	s_xor_b64 exec, exec, s[4:5]
	s_cbranch_execz .LBB0_14
; %bb.11:
	s_add_u32 s0, s16, s6
	s_addc_u32 s1, s17, s7
	s_load_dwordx2 s[0:1], s[0:1], 0x0
	s_mov_b32 s6, 0xa3d70a4
	v_mul_hi_u32 v6, v0, s6
	s_waitcnt lgkmcnt(0)
	v_mul_lo_u32 v7, s1, v28
	v_mul_lo_u32 v8, s0, v29
	v_mad_u64_u32 v[4:5], s[0:1], s0, v28, 0
	v_mul_u32_u24_e32 v6, 25, v6
	v_sub_u32_e32 v30, v0, v6
	v_add3_u32 v5, v5, v8, v7
	v_lshlrev_b64 v[4:5], 4, v[4:5]
	v_mov_b32_e32 v0, s9
	v_add_co_u32_e64 v4, s[0:1], s8, v4
	v_addc_co_u32_e64 v5, s[0:1], v0, v5, s[0:1]
	v_lshlrev_b64 v[0:1], 4, v[1:2]
	v_lshlrev_b32_e32 v2, 4, v30
	v_add_co_u32_e64 v0, s[0:1], v4, v0
	v_addc_co_u32_e64 v1, s[0:1], v5, v1, s[0:1]
	v_add_co_u32_e64 v24, s[0:1], v0, v2
	v_addc_co_u32_e64 v25, s[0:1], 0, v1, s[0:1]
	global_load_dwordx4 v[4:7], v[24:25], off
	global_load_dwordx4 v[8:11], v[24:25], off offset:400
	global_load_dwordx4 v[12:15], v[24:25], off offset:800
	;; [unrolled: 1-line block ×9, first 2 shown]
	v_add3_u32 v2, 0, v50, v2
	v_cmp_eq_u32_e64 s[0:1], 24, v30
	s_waitcnt vmcnt(9)
	ds_write_b128 v2, v[4:7]
	s_waitcnt vmcnt(8)
	ds_write_b128 v2, v[8:11] offset:400
	s_waitcnt vmcnt(7)
	ds_write_b128 v2, v[12:15] offset:800
	;; [unrolled: 2-line block ×9, first 2 shown]
	s_and_saveexec_b64 s[6:7], s[0:1]
	s_cbranch_execz .LBB0_13
; %bb.12:
	global_load_dwordx4 v[4:7], v[0:1], off offset:4000
	v_mov_b32_e32 v30, 24
	s_waitcnt vmcnt(0)
	ds_write_b128 v2, v[4:7] offset:3616
.LBB0_13:
	s_or_b64 exec, exec, s[6:7]
.LBB0_14:
	s_or_b64 exec, exec, s[4:5]
	v_lshl_add_u32 v47, v3, 4, 0
	v_lshlrev_b32_e32 v10, 4, v30
	v_add_u32_e32 v51, v47, v10
	s_waitcnt lgkmcnt(0)
	s_barrier
	v_sub_u32_e32 v11, v47, v10
	ds_read_b64 v[6:7], v51
	ds_read_b64 v[8:9], v11 offset:4000
	v_cmp_ne_u32_e64 s[0:1], 0, v30
                                        ; implicit-def: $vgpr4_vgpr5
	s_waitcnt lgkmcnt(0)
	v_add_f64 v[0:1], v[6:7], v[8:9]
	v_add_f64 v[2:3], v[6:7], -v[8:9]
	s_and_saveexec_b64 s[4:5], s[0:1]
	s_xor_b64 s[4:5], exec, s[4:5]
	s_cbranch_execz .LBB0_16
; %bb.15:
	v_mov_b32_e32 v31, 0
	v_lshlrev_b64 v[0:1], 4, v[30:31]
	v_mov_b32_e32 v2, s13
	v_add_co_u32_e64 v0, s[0:1], s12, v0
	v_addc_co_u32_e64 v1, s[0:1], v2, v1, s[0:1]
	global_load_dwordx4 v[2:5], v[0:1], off offset:3840
	ds_read_b64 v[0:1], v11 offset:4008
	ds_read_b64 v[12:13], v51 offset:8
	v_add_f64 v[14:15], v[6:7], v[8:9]
	v_add_f64 v[8:9], v[6:7], -v[8:9]
	s_waitcnt lgkmcnt(0)
	v_add_f64 v[16:17], v[0:1], v[12:13]
	v_add_f64 v[0:1], v[12:13], -v[0:1]
	s_waitcnt vmcnt(0)
	v_fma_f64 v[6:7], -v[8:9], v[4:5], v[14:15]
	v_fma_f64 v[12:13], v[16:17], v[4:5], -v[0:1]
	v_fma_f64 v[14:15], v[8:9], v[4:5], v[14:15]
	v_fma_f64 v[18:19], v[16:17], v[4:5], v[0:1]
	v_fma_f64 v[4:5], v[16:17], v[2:3], v[6:7]
	v_fma_f64 v[6:7], v[8:9], v[2:3], v[12:13]
	v_fma_f64 v[0:1], -v[16:17], v[2:3], v[14:15]
	v_fma_f64 v[2:3], v[8:9], v[2:3], v[18:19]
	ds_write_b128 v11, v[4:7] offset:4000
	v_mov_b32_e32 v4, v30
	v_mov_b32_e32 v5, v31
.LBB0_16:
	s_andn2_saveexec_b64 s[0:1], s[4:5]
	s_cbranch_execz .LBB0_18
; %bb.17:
	ds_read_b128 v[4:7], v47 offset:2000
	s_waitcnt lgkmcnt(0)
	v_add_f64 v[12:13], v[4:5], v[4:5]
	v_mul_f64 v[14:15], v[6:7], -2.0
	v_mov_b32_e32 v4, 0
	v_mov_b32_e32 v5, 0
	ds_write_b128 v47, v[12:15] offset:2000
.LBB0_18:
	s_or_b64 exec, exec, s[0:1]
	ds_write_b128 v51, v[0:3]
	ds_read_b128 v[0:3], v51 offset:400
	ds_read_b128 v[6:9], v11 offset:3600
	s_add_u32 s0, s12, 0xf00
	s_addc_u32 s4, s13, 0
	v_add3_u32 v48, 0, v10, v50
	s_mov_b32 s14, 0x134454ff
	s_waitcnt lgkmcnt(0)
	v_add_f64 v[12:13], v[0:1], v[6:7]
	v_add_f64 v[16:17], v[0:1], -v[6:7]
	v_lshlrev_b64 v[0:1], 4, v[4:5]
	v_add_f64 v[14:15], v[8:9], v[2:3]
	v_add_co_u32_e64 v18, s[0:1], s0, v0
	v_mov_b32_e32 v0, s4
	v_addc_co_u32_e64 v19, s[0:1], v0, v1, s[0:1]
	v_add_f64 v[8:9], v[2:3], -v[8:9]
	global_load_dwordx4 v[0:3], v[18:19], off offset:400
	s_mov_b32 s15, 0x3fee6f0e
	s_mov_b32 s9, 0xbfee6f0e
	;; [unrolled: 1-line block ×11, first 2 shown]
	v_add_u32_e32 v49, 25, v30
	s_waitcnt vmcnt(0)
	v_fma_f64 v[4:5], v[16:17], v[2:3], v[12:13]
	v_fma_f64 v[6:7], v[14:15], v[2:3], v[8:9]
	v_fma_f64 v[4:5], -v[14:15], v[0:1], v[4:5]
	v_fma_f64 v[6:7], v[16:17], v[0:1], v[6:7]
	ds_write_b128 v51, v[4:7] offset:400
	v_fma_f64 v[4:5], -v[16:17], v[2:3], v[12:13]
	v_fma_f64 v[2:3], v[14:15], v[2:3], -v[8:9]
	v_fma_f64 v[4:5], v[14:15], v[0:1], v[4:5]
	v_fma_f64 v[6:7], v[16:17], v[0:1], v[2:3]
	ds_write_b128 v11, v[4:7] offset:3600
	ds_read_b128 v[0:3], v51 offset:800
	ds_read_b128 v[4:7], v11 offset:3200
	s_waitcnt lgkmcnt(0)
	v_add_f64 v[8:9], v[0:1], v[4:5]
	v_add_f64 v[12:13], v[6:7], v[2:3]
	v_add_f64 v[14:15], v[0:1], -v[4:5]
	v_add_f64 v[16:17], v[2:3], -v[6:7]
	global_load_dwordx4 v[0:3], v[18:19], off offset:800
	s_waitcnt vmcnt(0)
	v_fma_f64 v[4:5], v[14:15], v[2:3], v[8:9]
	v_fma_f64 v[6:7], v[12:13], v[2:3], v[16:17]
	v_fma_f64 v[4:5], -v[12:13], v[0:1], v[4:5]
	v_fma_f64 v[6:7], v[14:15], v[0:1], v[6:7]
	ds_write_b128 v51, v[4:7] offset:800
	v_fma_f64 v[4:5], -v[14:15], v[2:3], v[8:9]
	v_fma_f64 v[2:3], v[12:13], v[2:3], -v[16:17]
	v_fma_f64 v[4:5], v[12:13], v[0:1], v[4:5]
	v_fma_f64 v[6:7], v[14:15], v[0:1], v[2:3]
	ds_write_b128 v11, v[4:7] offset:3200
	ds_read_b128 v[0:3], v51 offset:1200
	ds_read_b128 v[4:7], v11 offset:2800
	s_waitcnt lgkmcnt(0)
	v_add_f64 v[8:9], v[0:1], v[4:5]
	v_add_f64 v[12:13], v[6:7], v[2:3]
	v_add_f64 v[14:15], v[0:1], -v[4:5]
	v_add_f64 v[16:17], v[2:3], -v[6:7]
	global_load_dwordx4 v[0:3], v[18:19], off offset:1200
	;; [unrolled: 19-line block ×3, first 2 shown]
	s_waitcnt vmcnt(0)
	v_fma_f64 v[4:5], v[14:15], v[2:3], v[8:9]
	v_fma_f64 v[6:7], v[12:13], v[2:3], v[16:17]
	v_fma_f64 v[4:5], -v[12:13], v[0:1], v[4:5]
	v_fma_f64 v[6:7], v[14:15], v[0:1], v[6:7]
	ds_write_b128 v51, v[4:7] offset:1600
	v_fma_f64 v[4:5], -v[14:15], v[2:3], v[8:9]
	v_fma_f64 v[2:3], v[12:13], v[2:3], -v[16:17]
	v_fma_f64 v[4:5], v[12:13], v[0:1], v[4:5]
	v_fma_f64 v[6:7], v[14:15], v[0:1], v[2:3]
	ds_write_b128 v11, v[4:7] offset:2400
	s_waitcnt lgkmcnt(0)
	s_barrier
	s_barrier
	ds_read_b128 v[33:36], v51
	ds_read_b128 v[8:11], v48 offset:400
	ds_read_b128 v[39:42], v48 offset:800
	;; [unrolled: 1-line block ×9, first 2 shown]
	s_waitcnt lgkmcnt(5)
	v_add_f64 v[31:32], v[39:40], -v[52:53]
	s_waitcnt lgkmcnt(3)
	v_add_f64 v[43:44], v[54:55], -v[58:59]
	s_waitcnt lgkmcnt(0)
	v_add_f64 v[20:21], v[33:34], v[39:40]
	v_add_f64 v[37:38], v[41:42], -v[62:63]
	v_add_f64 v[45:46], v[60:61], -v[56:57]
	v_add_f64 v[64:65], v[56:57], -v[60:61]
	s_barrier
	v_add_f64 v[20:21], v[20:21], v[52:53]
	v_add_f64 v[31:32], v[31:32], v[45:46]
	v_add_f64 v[45:46], v[52:53], -v[39:40]
	v_add_f64 v[20:21], v[20:21], v[56:57]
	v_add_f64 v[45:46], v[45:46], v[64:65]
	v_add_f64 v[64:65], v[0:1], -v[4:5]
	;; [unrolled: 3-line block ×3, first 2 shown]
	v_add_f64 v[56:57], v[41:42], -v[54:55]
	v_fma_f64 v[20:21], v[20:21], -0.5, v[33:34]
	v_fma_f64 v[24:25], v[37:38], s[14:15], v[20:21]
	v_fma_f64 v[20:21], v[37:38], s[8:9], v[20:21]
	;; [unrolled: 1-line block ×6, first 2 shown]
	v_add_f64 v[20:21], v[39:40], v[60:61]
	v_fma_f64 v[20:21], v[20:21], -0.5, v[33:34]
	v_fma_f64 v[33:34], v[43:44], s[8:9], v[20:21]
	v_fma_f64 v[20:21], v[43:44], s[14:15], v[20:21]
	;; [unrolled: 1-line block ×6, first 2 shown]
	v_add_f64 v[20:21], v[35:36], v[41:42]
	v_add_f64 v[45:46], v[39:40], -v[60:61]
	v_add_f64 v[60:61], v[62:63], -v[58:59]
	v_add_f64 v[20:21], v[20:21], v[54:55]
	v_add_f64 v[56:57], v[56:57], v[60:61]
	v_add_f64 v[60:61], v[12:13], -v[16:17]
	v_add_f64 v[20:21], v[20:21], v[58:59]
	v_add_f64 v[43:44], v[20:21], v[62:63]
	;; [unrolled: 1-line block ×3, first 2 shown]
	v_fma_f64 v[20:21], v[20:21], -0.5, v[35:36]
	v_fma_f64 v[39:40], v[45:46], s[8:9], v[20:21]
	v_fma_f64 v[20:21], v[45:46], s[14:15], v[20:21]
	;; [unrolled: 1-line block ×6, first 2 shown]
	v_add_f64 v[56:57], v[41:42], v[62:63]
	v_add_f64 v[41:42], v[54:55], -v[41:42]
	v_add_f64 v[54:55], v[58:59], -v[62:63]
	v_add_f64 v[58:59], v[18:19], -v[2:3]
	v_add_f64 v[62:63], v[4:5], -v[0:1]
	v_fma_f64 v[35:36], v[56:57], -0.5, v[35:36]
	v_add_f64 v[54:55], v[41:42], v[54:55]
	v_add_f64 v[60:61], v[60:61], v[62:63]
	v_add_f64 v[62:63], v[16:17], -v[12:13]
	v_fma_f64 v[56:57], v[52:53], s[14:15], v[35:36]
	v_fma_f64 v[35:36], v[52:53], s[8:9], v[35:36]
	v_add_f64 v[52:53], v[16:17], v[0:1]
	v_add_f64 v[62:63], v[62:63], v[64:65]
	v_fma_f64 v[56:57], v[45:46], s[16:17], v[56:57]
	v_fma_f64 v[35:36], v[45:46], s[6:7], v[35:36]
	v_fma_f64 v[52:53], v[52:53], -0.5, v[8:9]
	v_add_f64 v[45:46], v[8:9], v[12:13]
	v_fma_f64 v[41:42], v[54:55], s[4:5], v[56:57]
	v_fma_f64 v[35:36], v[54:55], s[4:5], v[35:36]
	v_add_f64 v[54:55], v[14:15], -v[6:7]
	v_add_f64 v[45:46], v[45:46], v[16:17]
	v_fma_f64 v[56:57], v[54:55], s[14:15], v[52:53]
	v_fma_f64 v[52:53], v[54:55], s[8:9], v[52:53]
	v_add_f64 v[45:46], v[45:46], v[0:1]
	v_add_f64 v[0:1], v[16:17], -v[0:1]
	v_add_f64 v[16:17], v[14:15], -v[18:19]
	v_fma_f64 v[56:57], v[58:59], s[6:7], v[56:57]
	v_fma_f64 v[52:53], v[58:59], s[16:17], v[52:53]
	v_add_f64 v[45:46], v[45:46], v[4:5]
	v_fma_f64 v[56:57], v[60:61], s[4:5], v[56:57]
	v_fma_f64 v[52:53], v[60:61], s[4:5], v[52:53]
	v_add_f64 v[60:61], v[12:13], v[4:5]
	v_add_f64 v[4:5], v[12:13], -v[4:5]
	v_fma_f64 v[8:9], v[60:61], -0.5, v[8:9]
	v_fma_f64 v[60:61], v[58:59], s[8:9], v[8:9]
	v_fma_f64 v[8:9], v[58:59], s[14:15], v[8:9]
	;; [unrolled: 1-line block ×6, first 2 shown]
	v_add_f64 v[8:9], v[10:11], v[14:15]
	v_add_f64 v[62:63], v[6:7], -v[2:3]
	v_add_f64 v[8:9], v[8:9], v[18:19]
	v_add_f64 v[16:17], v[16:17], v[62:63]
	;; [unrolled: 1-line block ×5, first 2 shown]
	v_add_f64 v[2:3], v[2:3], -v[6:7]
	v_fma_f64 v[8:9], v[8:9], -0.5, v[10:11]
	v_fma_f64 v[12:13], v[4:5], s[8:9], v[8:9]
	v_fma_f64 v[8:9], v[4:5], s[14:15], v[8:9]
	;; [unrolled: 1-line block ×6, first 2 shown]
	v_add_f64 v[8:9], v[14:15], v[6:7]
	v_add_f64 v[12:13], v[18:19], -v[14:15]
	v_mul_f64 v[18:19], v[60:61], s[8:9]
	v_mul_f64 v[6:7], v[56:57], s[16:17]
	v_fma_f64 v[8:9], v[8:9], -0.5, v[10:11]
	v_add_f64 v[2:3], v[12:13], v[2:3]
	v_fma_f64 v[10:11], v[0:1], s[14:15], v[8:9]
	v_fma_f64 v[0:1], v[0:1], s[8:9], v[8:9]
	;; [unrolled: 1-line block ×6, first 2 shown]
	v_mul_f64 v[2:3], v[56:57], s[0:1]
	v_add_f64 v[0:1], v[22:23], v[45:46]
	v_add_f64 v[22:23], v[22:23], -v[45:46]
	v_fma_f64 v[66:67], v[62:63], s[6:7], v[2:3]
	v_mul_f64 v[2:3], v[10:11], s[14:15]
	v_fma_f64 v[62:63], v[62:63], s[0:1], v[6:7]
	v_add_f64 v[4:5], v[24:25], v[66:67]
	v_fma_f64 v[68:69], v[60:61], s[4:5], v[2:3]
	v_mul_f64 v[2:3], v[54:55], s[4:5]
	v_fma_f64 v[60:61], v[10:11], s[4:5], v[18:19]
	v_mul_f64 v[18:19], v[64:65], s[0:1]
	v_add_f64 v[6:7], v[39:40], v[62:63]
	v_add_f64 v[8:9], v[33:34], v[68:69]
	v_fma_f64 v[70:71], v[14:15], s[14:15], -v[2:3]
	v_mul_f64 v[14:15], v[14:15], s[4:5]
	v_mul_f64 v[2:3], v[52:53], s[0:1]
	v_add_f64 v[10:11], v[41:42], v[60:61]
	s_movk_i32 s0, 0x90
	v_add_f64 v[56:57], v[33:34], -v[68:69]
	v_add_f64 v[12:13], v[37:38], v[70:71]
	v_fma_f64 v[74:75], v[54:55], s[8:9], -v[14:15]
	v_fma_f64 v[72:73], v[64:65], s[6:7], -v[2:3]
	;; [unrolled: 1-line block ×3, first 2 shown]
	v_add_f64 v[2:3], v[43:44], v[58:59]
	v_add_f64 v[52:53], v[24:25], -v[66:67]
	v_add_f64 v[24:25], v[43:44], -v[58:59]
	;; [unrolled: 1-line block ×4, first 2 shown]
	v_add_f64 v[14:15], v[35:36], v[74:75]
	v_add_f64 v[16:17], v[31:32], v[72:73]
	;; [unrolled: 1-line block ×3, first 2 shown]
	v_add_f64 v[37:38], v[31:32], -v[72:73]
	v_add_f64 v[58:59], v[41:42], -v[60:61]
	;; [unrolled: 1-line block ×3, first 2 shown]
	v_mad_u32_u24 v31, v30, s0, v48
	s_movk_i32 s0, 0xff70
	v_add_f64 v[35:36], v[35:36], -v[74:75]
	ds_write_b128 v31, v[0:3]
	ds_write_b128 v31, v[4:7] offset:16
	ds_write_b128 v31, v[8:11] offset:32
	;; [unrolled: 1-line block ×9, first 2 shown]
	v_mad_i32_i24 v39, v30, s0, v31
	s_movk_i32 s0, 0xcd
	v_mul_lo_u16_sdwa v4, v30, s0 dst_sel:DWORD dst_unused:UNUSED_PAD src0_sel:BYTE_0 src1_sel:DWORD
	v_lshrrev_b16_e32 v37, 11, v4
	v_mul_lo_u16_e32 v4, 10, v37
	v_sub_u16_e32 v38, v30, v4
	v_mov_b32_e32 v35, 6
	v_lshlrev_b32_sdwa v4, v35, v38 dst_sel:DWORD dst_unused:UNUSED_PAD src0_sel:DWORD src1_sel:BYTE_0
	s_waitcnt lgkmcnt(0)
	s_barrier
	ds_read_b128 v[6:9], v51
	ds_read_b128 v[10:13], v48 offset:800
	ds_read_b128 v[14:17], v48 offset:1600
	;; [unrolled: 1-line block ×9, first 2 shown]
	global_load_dwordx4 v[60:63], v4, s[12:13] offset:48
	global_load_dwordx4 v[64:67], v4, s[12:13] offset:32
	;; [unrolled: 1-line block ×3, first 2 shown]
	global_load_dwordx4 v[72:75], v4, s[12:13]
	s_waitcnt vmcnt(0) lgkmcnt(8)
	v_mul_f64 v[4:5], v[12:13], v[74:75]
	v_fma_f64 v[76:77], v[10:11], v[72:73], -v[4:5]
	v_mul_f64 v[4:5], v[10:11], v[74:75]
	v_fma_f64 v[72:73], v[12:13], v[72:73], v[4:5]
	s_waitcnt lgkmcnt(7)
	v_mul_f64 v[4:5], v[16:17], v[70:71]
	v_fma_f64 v[74:75], v[14:15], v[68:69], -v[4:5]
	v_mul_f64 v[4:5], v[14:15], v[70:71]
	v_fma_f64 v[68:69], v[16:17], v[68:69], v[4:5]
	s_waitcnt lgkmcnt(6)
	;; [unrolled: 5-line block ×3, first 2 shown]
	v_mul_f64 v[4:5], v[24:25], v[62:63]
	v_fma_f64 v[66:67], v[22:23], v[60:61], -v[4:5]
	v_mul_f64 v[4:5], v[22:23], v[62:63]
	v_fma_f64 v[60:61], v[24:25], v[60:61], v[4:5]
	v_mul_lo_u16_sdwa v4, v49, s0 dst_sel:DWORD dst_unused:UNUSED_PAD src0_sel:BYTE_0 src1_sel:DWORD
	v_lshrrev_b16_e32 v41, 11, v4
	v_mul_lo_u16_e32 v4, 10, v41
	v_sub_u16_e32 v40, v49, v4
	v_lshlrev_b32_sdwa v4, v35, v40 dst_sel:DWORD dst_unused:UNUSED_PAD src0_sel:DWORD src1_sel:BYTE_0
	global_load_dwordx4 v[10:13], v4, s[12:13] offset:48
	global_load_dwordx4 v[14:17], v4, s[12:13] offset:32
	;; [unrolled: 1-line block ×3, first 2 shown]
	global_load_dwordx4 v[22:25], v4, s[12:13]
	s_movk_i32 s0, 0x320
	s_waitcnt vmcnt(0) lgkmcnt(0)
	s_barrier
	v_mul_f64 v[4:5], v[33:34], v[24:25]
	v_fma_f64 v[62:63], v[31:32], v[22:23], -v[4:5]
	v_mul_f64 v[4:5], v[31:32], v[24:25]
	v_add_f64 v[24:25], v[72:73], -v[68:69]
	v_fma_f64 v[31:32], v[33:34], v[22:23], v[4:5]
	v_mul_f64 v[4:5], v[44:45], v[20:21]
	v_add_f64 v[22:23], v[70:71], -v[66:67]
	v_fma_f64 v[78:79], v[42:43], v[18:19], -v[4:5]
	v_mul_f64 v[4:5], v[42:43], v[20:21]
	v_add_f64 v[20:21], v[66:67], -v[70:71]
	v_add_f64 v[42:43], v[74:75], -v[70:71]
	v_fma_f64 v[33:34], v[44:45], v[18:19], v[4:5]
	v_mul_f64 v[4:5], v[54:55], v[16:17]
	v_add_f64 v[18:19], v[76:77], -v[74:75]
	v_add_f64 v[44:45], v[60:61], -v[64:65]
	v_fma_f64 v[80:81], v[52:53], v[14:15], -v[4:5]
	v_mul_f64 v[4:5], v[52:53], v[16:17]
	v_add_f64 v[16:17], v[68:69], -v[64:65]
	v_add_f64 v[18:19], v[18:19], v[20:21]
	v_add_f64 v[20:21], v[74:75], -v[76:77]
	v_add_f64 v[24:25], v[24:25], v[44:45]
	v_add_f64 v[44:45], v[68:69], -v[72:73]
	v_add_f64 v[52:53], v[64:65], -v[60:61]
	v_fma_f64 v[35:36], v[54:55], v[14:15], v[4:5]
	v_mul_f64 v[4:5], v[58:59], v[12:13]
	v_add_f64 v[20:21], v[20:21], v[22:23]
	v_add_f64 v[44:45], v[44:45], v[52:53]
	v_fma_f64 v[54:55], v[56:57], v[10:11], -v[4:5]
	v_mul_f64 v[4:5], v[56:57], v[12:13]
	v_add_f64 v[12:13], v[72:73], -v[60:61]
	v_add_f64 v[56:57], v[62:63], -v[78:79]
	v_fma_f64 v[82:83], v[58:59], v[10:11], v[4:5]
	v_add_f64 v[10:11], v[74:75], v[70:71]
	v_add_f64 v[4:5], v[6:7], v[76:77]
	v_add_f64 v[58:59], v[33:34], -v[35:36]
	v_fma_f64 v[10:11], v[10:11], -0.5, v[6:7]
	v_add_f64 v[4:5], v[4:5], v[74:75]
	v_fma_f64 v[14:15], v[12:13], s[14:15], v[10:11]
	v_fma_f64 v[10:11], v[12:13], s[8:9], v[10:11]
	v_add_f64 v[4:5], v[4:5], v[70:71]
	v_fma_f64 v[14:15], v[16:17], s[6:7], v[14:15]
	v_fma_f64 v[10:11], v[16:17], s[16:17], v[10:11]
	;; [unrolled: 3-line block ×3, first 2 shown]
	v_add_f64 v[18:19], v[76:77], v[66:67]
	v_fma_f64 v[6:7], v[18:19], -0.5, v[6:7]
	v_fma_f64 v[18:19], v[16:17], s[8:9], v[6:7]
	v_fma_f64 v[6:7], v[16:17], s[14:15], v[6:7]
	;; [unrolled: 1-line block ×4, first 2 shown]
	v_add_f64 v[12:13], v[68:69], v[64:65]
	v_fma_f64 v[22:23], v[20:21], s[4:5], v[18:19]
	v_fma_f64 v[18:19], v[20:21], s[4:5], v[6:7]
	v_fma_f64 v[12:13], v[12:13], -0.5, v[8:9]
	v_add_f64 v[20:21], v[76:77], -v[66:67]
	v_add_f64 v[6:7], v[8:9], v[72:73]
	v_add_f64 v[66:67], v[82:83], -v[35:36]
	v_fma_f64 v[16:17], v[20:21], s[8:9], v[12:13]
	v_fma_f64 v[12:13], v[20:21], s[14:15], v[12:13]
	v_add_f64 v[6:7], v[6:7], v[68:69]
	v_fma_f64 v[16:17], v[42:43], s[16:17], v[16:17]
	v_fma_f64 v[12:13], v[42:43], s[6:7], v[12:13]
	v_add_f64 v[6:7], v[6:7], v[64:65]
	v_add_f64 v[64:65], v[80:81], -v[54:55]
	v_fma_f64 v[16:17], v[24:25], s[4:5], v[16:17]
	v_fma_f64 v[12:13], v[24:25], s[4:5], v[12:13]
	v_add_f64 v[24:25], v[72:73], v[60:61]
	v_add_f64 v[6:7], v[6:7], v[60:61]
	v_add_f64 v[60:61], v[54:55], -v[80:81]
	v_fma_f64 v[8:9], v[24:25], -0.5, v[8:9]
	v_add_f64 v[56:57], v[56:57], v[60:61]
	v_add_f64 v[60:61], v[78:79], -v[62:63]
	v_fma_f64 v[24:25], v[42:43], s[14:15], v[8:9]
	v_fma_f64 v[8:9], v[42:43], s[8:9], v[8:9]
	v_add_f64 v[60:61], v[60:61], v[64:65]
	v_add_f64 v[64:65], v[78:79], -v[80:81]
	v_fma_f64 v[24:25], v[20:21], s[16:17], v[24:25]
	v_fma_f64 v[8:9], v[20:21], s[6:7], v[8:9]
	;; [unrolled: 1-line block ×4, first 2 shown]
	v_add_f64 v[8:9], v[0:1], v[62:63]
	v_add_f64 v[44:45], v[31:32], -v[82:83]
	v_add_f64 v[8:9], v[8:9], v[78:79]
	v_add_f64 v[8:9], v[8:9], v[80:81]
	;; [unrolled: 1-line block ×4, first 2 shown]
	v_fma_f64 v[8:9], v[8:9], -0.5, v[0:1]
	v_fma_f64 v[52:53], v[44:45], s[14:15], v[8:9]
	v_fma_f64 v[8:9], v[44:45], s[8:9], v[8:9]
	;; [unrolled: 1-line block ×6, first 2 shown]
	v_add_f64 v[8:9], v[62:63], v[54:55]
	v_add_f64 v[62:63], v[62:63], -v[54:55]
	v_fma_f64 v[8:9], v[8:9], -0.5, v[0:1]
	v_fma_f64 v[0:1], v[58:59], s[8:9], v[8:9]
	v_fma_f64 v[8:9], v[58:59], s[14:15], v[8:9]
	v_add_f64 v[58:59], v[31:32], -v[33:34]
	v_fma_f64 v[0:1], v[44:45], s[6:7], v[0:1]
	v_fma_f64 v[8:9], v[44:45], s[16:17], v[8:9]
	v_add_f64 v[58:59], v[58:59], v[66:67]
	v_fma_f64 v[0:1], v[60:61], s[4:5], v[0:1]
	v_fma_f64 v[60:61], v[60:61], s[4:5], v[8:9]
	v_add_f64 v[8:9], v[2:3], v[31:32]
	v_add_f64 v[8:9], v[8:9], v[33:34]
	;; [unrolled: 1-line block ×5, first 2 shown]
	v_fma_f64 v[8:9], v[8:9], -0.5, v[2:3]
	v_fma_f64 v[54:55], v[62:63], s[8:9], v[8:9]
	v_fma_f64 v[8:9], v[62:63], s[14:15], v[8:9]
	;; [unrolled: 1-line block ×6, first 2 shown]
	v_add_f64 v[8:9], v[31:32], v[82:83]
	v_add_f64 v[31:32], v[33:34], -v[31:32]
	v_add_f64 v[33:34], v[35:36], -v[82:83]
	v_fma_f64 v[8:9], v[8:9], -0.5, v[2:3]
	v_add_f64 v[31:32], v[31:32], v[33:34]
	v_fma_f64 v[2:3], v[64:65], s[14:15], v[8:9]
	v_fma_f64 v[8:9], v[64:65], s[8:9], v[8:9]
	;; [unrolled: 1-line block ×6, first 2 shown]
	v_mov_b32_e32 v9, 4
	v_mad_u32_u24 v8, v37, s0, 0
	v_lshlrev_b32_sdwa v31, v9, v38 dst_sel:DWORD dst_unused:UNUSED_PAD src0_sel:DWORD src1_sel:BYTE_0
	v_add3_u32 v8, v8, v31, v50
	ds_write_b128 v8, v[4:7]
	ds_write_b128 v8, v[14:17] offset:160
	ds_write_b128 v8, v[22:25] offset:320
	;; [unrolled: 1-line block ×4, first 2 shown]
	v_lshlrev_b32_e32 v23, 2, v30
	v_mov_b32_e32 v24, 0
	v_mad_u32_u24 v4, v41, s0, 0
	v_lshlrev_b32_sdwa v5, v9, v40 dst_sel:DWORD dst_unused:UNUSED_PAD src0_sel:DWORD src1_sel:BYTE_0
	v_lshlrev_b64 v[20:21], 4, v[23:24]
	v_add3_u32 v4, v4, v5, v50
	ds_write_b128 v4, v[42:45]
	ds_write_b128 v4, v[52:55] offset:160
	ds_write_b128 v4, v[0:3] offset:320
	;; [unrolled: 1-line block ×4, first 2 shown]
	v_add_co_u32_e64 v44, s[0:1], s12, v20
	v_mov_b32_e32 v20, s13
	v_addc_co_u32_e64 v45, s[0:1], v20, v21, s[0:1]
	s_waitcnt lgkmcnt(0)
	s_barrier
	ds_read_b128 v[4:7], v51
	ds_read_b128 v[8:11], v48 offset:800
	ds_read_b128 v[12:15], v48 offset:1600
	;; [unrolled: 1-line block ×9, first 2 shown]
	global_load_dwordx4 v[20:23], v[44:45], off offset:688
	global_load_dwordx4 v[58:61], v[44:45], off offset:672
	global_load_dwordx4 v[62:65], v[44:45], off offset:656
	global_load_dwordx4 v[66:69], v[44:45], off offset:640
	s_waitcnt vmcnt(0) lgkmcnt(8)
	v_mul_f64 v[44:45], v[10:11], v[68:69]
	v_fma_f64 v[44:45], v[8:9], v[66:67], -v[44:45]
	v_mul_f64 v[8:9], v[8:9], v[68:69]
	v_fma_f64 v[66:67], v[10:11], v[66:67], v[8:9]
	s_waitcnt lgkmcnt(7)
	v_mul_f64 v[8:9], v[14:15], v[64:65]
	v_fma_f64 v[68:69], v[12:13], v[62:63], -v[8:9]
	v_mul_f64 v[8:9], v[12:13], v[64:65]
	v_fma_f64 v[62:63], v[14:15], v[62:63], v[8:9]
	s_waitcnt lgkmcnt(6)
	;; [unrolled: 5-line block ×3, first 2 shown]
	v_mul_f64 v[8:9], v[33:34], v[22:23]
	v_fma_f64 v[60:61], v[31:32], v[20:21], -v[8:9]
	v_mul_f64 v[8:9], v[31:32], v[22:23]
	v_lshlrev_b32_e32 v23, 2, v49
	v_fma_f64 v[70:71], v[33:34], v[20:21], v[8:9]
	v_lshlrev_b64 v[8:9], 4, v[23:24]
	v_add_co_u32_e64 v31, s[0:1], s12, v8
	v_mov_b32_e32 v8, s13
	v_addc_co_u32_e64 v32, s[0:1], v8, v9, s[0:1]
	global_load_dwordx4 v[8:11], v[31:32], off offset:688
	global_load_dwordx4 v[12:15], v[31:32], off offset:672
	;; [unrolled: 1-line block ×4, first 2 shown]
	s_waitcnt vmcnt(0) lgkmcnt(0)
	s_barrier
	v_mul_f64 v[31:32], v[37:38], v[22:23]
	v_mul_f64 v[22:23], v[35:36], v[22:23]
	v_fma_f64 v[72:73], v[35:36], v[20:21], -v[31:32]
	v_fma_f64 v[31:32], v[37:38], v[20:21], v[22:23]
	v_mul_f64 v[20:21], v[42:43], v[18:19]
	v_mul_f64 v[18:19], v[40:41], v[18:19]
	v_add_f64 v[22:23], v[64:65], -v[60:61]
	v_fma_f64 v[74:75], v[40:41], v[16:17], -v[20:21]
	v_fma_f64 v[33:34], v[42:43], v[16:17], v[18:19]
	v_mul_f64 v[16:17], v[52:53], v[14:15]
	v_mul_f64 v[14:15], v[50:51], v[14:15]
	v_add_f64 v[18:19], v[62:63], -v[58:59]
	v_add_f64 v[20:21], v[60:61], -v[64:65]
	;; [unrolled: 1-line block ×4, first 2 shown]
	v_fma_f64 v[76:77], v[50:51], v[12:13], -v[16:17]
	v_fma_f64 v[35:36], v[52:53], v[12:13], v[14:15]
	v_mul_f64 v[12:13], v[56:57], v[10:11]
	v_mul_f64 v[10:11], v[54:55], v[10:11]
	v_add_f64 v[14:15], v[66:67], -v[70:71]
	v_add_f64 v[16:17], v[44:45], -v[68:69]
	v_add_f64 v[51:52], v[58:59], -v[70:71]
	v_fma_f64 v[49:50], v[54:55], v[8:9], -v[12:13]
	v_fma_f64 v[37:38], v[56:57], v[8:9], v[10:11]
	v_add_f64 v[10:11], v[68:69], v[64:65]
	v_add_f64 v[20:21], v[16:17], v[20:21]
	;; [unrolled: 1-line block ×3, first 2 shown]
	v_add_f64 v[53:54], v[33:34], -v[35:36]
	v_add_f64 v[55:56], v[72:73], -v[74:75]
	v_fma_f64 v[10:11], v[10:11], -0.5, v[4:5]
	v_add_f64 v[8:9], v[8:9], v[68:69]
	v_fma_f64 v[12:13], v[14:15], s[14:15], v[10:11]
	v_fma_f64 v[10:11], v[14:15], s[8:9], v[10:11]
	v_add_f64 v[8:9], v[8:9], v[64:65]
	v_fma_f64 v[12:13], v[18:19], s[6:7], v[12:13]
	v_fma_f64 v[10:11], v[18:19], s[16:17], v[10:11]
	;; [unrolled: 3-line block ×3, first 2 shown]
	v_add_f64 v[10:11], v[44:45], v[60:61]
	v_add_f64 v[20:21], v[68:69], -v[44:45]
	v_add_f64 v[44:45], v[70:71], -v[58:59]
	v_fma_f64 v[4:5], v[10:11], -0.5, v[4:5]
	v_add_f64 v[22:23], v[20:21], v[22:23]
	v_fma_f64 v[10:11], v[18:19], s[8:9], v[4:5]
	v_fma_f64 v[4:5], v[18:19], s[14:15], v[4:5]
	;; [unrolled: 1-line block ×4, first 2 shown]
	v_add_f64 v[14:15], v[62:63], v[58:59]
	v_fma_f64 v[20:21], v[22:23], s[4:5], v[10:11]
	v_fma_f64 v[4:5], v[22:23], s[4:5], v[4:5]
	v_fma_f64 v[14:15], v[14:15], -0.5, v[6:7]
	v_add_f64 v[22:23], v[66:67], -v[62:63]
	v_add_f64 v[10:11], v[6:7], v[66:67]
	v_fma_f64 v[18:19], v[40:41], s[8:9], v[14:15]
	v_fma_f64 v[14:15], v[40:41], s[14:15], v[14:15]
	v_add_f64 v[22:23], v[22:23], v[44:45]
	v_add_f64 v[44:45], v[62:63], -v[66:67]
	v_add_f64 v[10:11], v[10:11], v[62:63]
	v_add_f64 v[61:62], v[31:32], -v[33:34]
	v_add_f64 v[63:64], v[37:38], -v[35:36]
	v_fma_f64 v[18:19], v[42:43], s[16:17], v[18:19]
	v_fma_f64 v[14:15], v[42:43], s[6:7], v[14:15]
	v_add_f64 v[44:45], v[44:45], v[51:52]
	v_add_f64 v[10:11], v[10:11], v[58:59]
	v_add_f64 v[57:58], v[49:50], -v[76:77]
	v_add_f64 v[59:60], v[76:77], -v[49:50]
	v_add_f64 v[61:62], v[61:62], v[63:64]
	v_fma_f64 v[18:19], v[22:23], s[4:5], v[18:19]
	v_fma_f64 v[14:15], v[22:23], s[4:5], v[14:15]
	v_add_f64 v[22:23], v[66:67], v[70:71]
	v_add_f64 v[10:11], v[10:11], v[70:71]
	v_add_f64 v[55:56], v[55:56], v[57:58]
	v_add_f64 v[57:58], v[74:75], -v[72:73]
	v_fma_f64 v[6:7], v[22:23], -0.5, v[6:7]
	v_add_f64 v[57:58], v[57:58], v[59:60]
	v_fma_f64 v[22:23], v[42:43], s[14:15], v[6:7]
	v_fma_f64 v[6:7], v[42:43], s[8:9], v[6:7]
	v_add_f64 v[42:43], v[74:75], v[76:77]
	v_fma_f64 v[22:23], v[40:41], s[16:17], v[22:23]
	v_fma_f64 v[6:7], v[40:41], s[6:7], v[6:7]
	v_fma_f64 v[42:43], v[42:43], -0.5, v[0:1]
	v_add_f64 v[40:41], v[0:1], v[72:73]
	v_fma_f64 v[22:23], v[44:45], s[4:5], v[22:23]
	v_fma_f64 v[6:7], v[44:45], s[4:5], v[6:7]
	v_add_f64 v[44:45], v[31:32], -v[37:38]
	v_add_f64 v[40:41], v[40:41], v[74:75]
	v_fma_f64 v[51:52], v[44:45], s[14:15], v[42:43]
	v_fma_f64 v[42:43], v[44:45], s[8:9], v[42:43]
	v_add_f64 v[40:41], v[40:41], v[76:77]
	v_fma_f64 v[51:52], v[53:54], s[6:7], v[51:52]
	v_fma_f64 v[42:43], v[53:54], s[16:17], v[42:43]
	;; [unrolled: 3-line block ×3, first 2 shown]
	v_add_f64 v[42:43], v[72:73], v[49:50]
	v_add_f64 v[49:50], v[72:73], -v[49:50]
	v_fma_f64 v[0:1], v[42:43], -0.5, v[0:1]
	v_fma_f64 v[42:43], v[53:54], s[8:9], v[0:1]
	v_fma_f64 v[0:1], v[53:54], s[14:15], v[0:1]
	;; [unrolled: 1-line block ×4, first 2 shown]
	v_add_f64 v[44:45], v[33:34], v[35:36]
	v_fma_f64 v[59:60], v[57:58], s[4:5], v[42:43]
	v_fma_f64 v[0:1], v[57:58], s[4:5], v[0:1]
	v_fma_f64 v[44:45], v[44:45], -0.5, v[2:3]
	v_add_f64 v[57:58], v[74:75], -v[76:77]
	v_add_f64 v[42:43], v[2:3], v[31:32]
	v_fma_f64 v[53:54], v[49:50], s[8:9], v[44:45]
	v_fma_f64 v[44:45], v[49:50], s[14:15], v[44:45]
	v_add_f64 v[42:43], v[42:43], v[33:34]
	v_fma_f64 v[53:54], v[57:58], s[16:17], v[53:54]
	v_fma_f64 v[44:45], v[57:58], s[6:7], v[44:45]
	;; [unrolled: 3-line block ×3, first 2 shown]
	v_add_f64 v[61:62], v[31:32], v[37:38]
	v_add_f64 v[31:32], v[33:34], -v[31:32]
	v_add_f64 v[33:34], v[35:36], -v[37:38]
	v_add_f64 v[42:43], v[42:43], v[37:38]
	v_fma_f64 v[2:3], v[61:62], -0.5, v[2:3]
	v_add_f64 v[31:32], v[31:32], v[33:34]
	v_fma_f64 v[61:62], v[57:58], s[14:15], v[2:3]
	v_fma_f64 v[2:3], v[57:58], s[8:9], v[2:3]
	v_fma_f64 v[61:62], v[49:50], s[16:17], v[61:62]
	v_fma_f64 v[2:3], v[49:50], s[6:7], v[2:3]
	v_fma_f64 v[33:34], v[31:32], s[4:5], v[61:62]
	v_fma_f64 v[2:3], v[31:32], s[4:5], v[2:3]
	ds_write_b128 v48, v[8:11]
	ds_write_b128 v48, v[16:19] offset:800
	ds_write_b128 v48, v[20:23] offset:1600
	;; [unrolled: 1-line block ×5, first 2 shown]
	ds_write2_b64 v39, v[51:52], v[53:54] offset0:150 offset1:151
	ds_write2_b64 v39, v[59:60], v[33:34] offset0:250 offset1:251
	v_add_u32_e32 v4, 0x800, v39
	ds_write2_b64 v4, v[0:1], v[2:3] offset0:94 offset1:95
	ds_write2_b64 v4, v[55:56], v[44:45] offset0:194 offset1:195
	s_waitcnt lgkmcnt(0)
	s_barrier
	s_and_saveexec_b64 s[0:1], vcc
	s_cbranch_execz .LBB0_20
; %bb.19:
	v_mul_lo_u32 v0, s3, v28
	v_mul_lo_u32 v1, s2, v29
	v_mad_u64_u32 v[4:5], s[0:1], s2, v28, 0
	v_mov_b32_e32 v6, s11
	v_lshl_add_u32 v10, v30, 4, v47
	v_add3_u32 v5, v5, v1, v0
	v_lshlrev_b64 v[4:5], 4, v[4:5]
	v_mov_b32_e32 v31, v24
	v_add_co_u32_e32 v7, vcc, s10, v4
	v_addc_co_u32_e32 v6, vcc, v6, v5, vcc
	v_lshlrev_b64 v[4:5], 4, v[26:27]
	ds_read_b128 v[0:3], v10
	v_add_co_u32_e32 v11, vcc, v7, v4
	v_addc_co_u32_e32 v12, vcc, v6, v5, vcc
	v_lshlrev_b64 v[4:5], 4, v[30:31]
	v_add_u32_e32 v23, 25, v30
	v_add_co_u32_e32 v8, vcc, v11, v4
	v_addc_co_u32_e32 v9, vcc, v12, v5, vcc
	ds_read_b128 v[4:7], v10 offset:400
	s_waitcnt lgkmcnt(1)
	global_store_dwordx4 v[8:9], v[0:3], off
	s_nop 0
	v_lshlrev_b64 v[0:1], 4, v[23:24]
	v_add_u32_e32 v23, 50, v30
	v_add_co_u32_e32 v0, vcc, v11, v0
	v_addc_co_u32_e32 v1, vcc, v12, v1, vcc
	s_waitcnt lgkmcnt(0)
	global_store_dwordx4 v[0:1], v[4:7], off
	ds_read_b128 v[0:3], v10 offset:800
	v_lshlrev_b64 v[4:5], 4, v[23:24]
	v_add_u32_e32 v23, 0x4b, v30
	v_add_co_u32_e32 v8, vcc, v11, v4
	v_addc_co_u32_e32 v9, vcc, v12, v5, vcc
	ds_read_b128 v[4:7], v10 offset:1200
	s_waitcnt lgkmcnt(1)
	global_store_dwordx4 v[8:9], v[0:3], off
	s_nop 0
	v_lshlrev_b64 v[0:1], 4, v[23:24]
	v_add_u32_e32 v23, 0x64, v30
	v_add_co_u32_e32 v0, vcc, v11, v0
	v_addc_co_u32_e32 v1, vcc, v12, v1, vcc
	s_waitcnt lgkmcnt(0)
	global_store_dwordx4 v[0:1], v[4:7], off
	ds_read_b128 v[0:3], v10 offset:1600
	;; [unrolled: 15-line block ×4, first 2 shown]
	v_lshlrev_b64 v[4:5], 4, v[23:24]
	v_add_u32_e32 v23, 0xe1, v30
	v_add_co_u32_e32 v8, vcc, v11, v4
	v_addc_co_u32_e32 v9, vcc, v12, v5, vcc
	ds_read_b128 v[4:7], v10 offset:3600
	s_waitcnt lgkmcnt(1)
	global_store_dwordx4 v[8:9], v[0:3], off
	s_nop 0
	v_lshlrev_b64 v[0:1], 4, v[23:24]
	v_add_co_u32_e32 v0, vcc, v11, v0
	v_addc_co_u32_e32 v1, vcc, v12, v1, vcc
	s_waitcnt lgkmcnt(0)
	global_store_dwordx4 v[0:1], v[4:7], off
.LBB0_20:
	s_endpgm
	.section	.rodata,"a",@progbits
	.p2align	6, 0x0
	.amdhsa_kernel fft_rtc_fwd_len250_factors_10_5_5_wgs_125_tpt_25_halfLds_dp_op_CI_CI_unitstride_sbrr_C2R_dirReg
		.amdhsa_group_segment_fixed_size 0
		.amdhsa_private_segment_fixed_size 0
		.amdhsa_kernarg_size 104
		.amdhsa_user_sgpr_count 6
		.amdhsa_user_sgpr_private_segment_buffer 1
		.amdhsa_user_sgpr_dispatch_ptr 0
		.amdhsa_user_sgpr_queue_ptr 0
		.amdhsa_user_sgpr_kernarg_segment_ptr 1
		.amdhsa_user_sgpr_dispatch_id 0
		.amdhsa_user_sgpr_flat_scratch_init 0
		.amdhsa_user_sgpr_private_segment_size 0
		.amdhsa_uses_dynamic_stack 0
		.amdhsa_system_sgpr_private_segment_wavefront_offset 0
		.amdhsa_system_sgpr_workgroup_id_x 1
		.amdhsa_system_sgpr_workgroup_id_y 0
		.amdhsa_system_sgpr_workgroup_id_z 0
		.amdhsa_system_sgpr_workgroup_info 0
		.amdhsa_system_vgpr_workitem_id 0
		.amdhsa_next_free_vgpr 84
		.amdhsa_next_free_sgpr 28
		.amdhsa_reserve_vcc 1
		.amdhsa_reserve_flat_scratch 0
		.amdhsa_float_round_mode_32 0
		.amdhsa_float_round_mode_16_64 0
		.amdhsa_float_denorm_mode_32 3
		.amdhsa_float_denorm_mode_16_64 3
		.amdhsa_dx10_clamp 1
		.amdhsa_ieee_mode 1
		.amdhsa_fp16_overflow 0
		.amdhsa_exception_fp_ieee_invalid_op 0
		.amdhsa_exception_fp_denorm_src 0
		.amdhsa_exception_fp_ieee_div_zero 0
		.amdhsa_exception_fp_ieee_overflow 0
		.amdhsa_exception_fp_ieee_underflow 0
		.amdhsa_exception_fp_ieee_inexact 0
		.amdhsa_exception_int_div_zero 0
	.end_amdhsa_kernel
	.text
.Lfunc_end0:
	.size	fft_rtc_fwd_len250_factors_10_5_5_wgs_125_tpt_25_halfLds_dp_op_CI_CI_unitstride_sbrr_C2R_dirReg, .Lfunc_end0-fft_rtc_fwd_len250_factors_10_5_5_wgs_125_tpt_25_halfLds_dp_op_CI_CI_unitstride_sbrr_C2R_dirReg
                                        ; -- End function
	.section	.AMDGPU.csdata,"",@progbits
; Kernel info:
; codeLenInByte = 7624
; NumSgprs: 32
; NumVgprs: 84
; ScratchSize: 0
; MemoryBound: 0
; FloatMode: 240
; IeeeMode: 1
; LDSByteSize: 0 bytes/workgroup (compile time only)
; SGPRBlocks: 3
; VGPRBlocks: 20
; NumSGPRsForWavesPerEU: 32
; NumVGPRsForWavesPerEU: 84
; Occupancy: 3
; WaveLimiterHint : 1
; COMPUTE_PGM_RSRC2:SCRATCH_EN: 0
; COMPUTE_PGM_RSRC2:USER_SGPR: 6
; COMPUTE_PGM_RSRC2:TRAP_HANDLER: 0
; COMPUTE_PGM_RSRC2:TGID_X_EN: 1
; COMPUTE_PGM_RSRC2:TGID_Y_EN: 0
; COMPUTE_PGM_RSRC2:TGID_Z_EN: 0
; COMPUTE_PGM_RSRC2:TIDIG_COMP_CNT: 0
	.type	__hip_cuid_e899ffb4817eb958,@object ; @__hip_cuid_e899ffb4817eb958
	.section	.bss,"aw",@nobits
	.globl	__hip_cuid_e899ffb4817eb958
__hip_cuid_e899ffb4817eb958:
	.byte	0                               ; 0x0
	.size	__hip_cuid_e899ffb4817eb958, 1

	.ident	"AMD clang version 19.0.0git (https://github.com/RadeonOpenCompute/llvm-project roc-6.4.0 25133 c7fe45cf4b819c5991fe208aaa96edf142730f1d)"
	.section	".note.GNU-stack","",@progbits
	.addrsig
	.addrsig_sym __hip_cuid_e899ffb4817eb958
	.amdgpu_metadata
---
amdhsa.kernels:
  - .args:
      - .actual_access:  read_only
        .address_space:  global
        .offset:         0
        .size:           8
        .value_kind:     global_buffer
      - .offset:         8
        .size:           8
        .value_kind:     by_value
      - .actual_access:  read_only
        .address_space:  global
        .offset:         16
        .size:           8
        .value_kind:     global_buffer
      - .actual_access:  read_only
        .address_space:  global
        .offset:         24
        .size:           8
        .value_kind:     global_buffer
      - .actual_access:  read_only
        .address_space:  global
        .offset:         32
        .size:           8
        .value_kind:     global_buffer
      - .offset:         40
        .size:           8
        .value_kind:     by_value
      - .actual_access:  read_only
        .address_space:  global
        .offset:         48
        .size:           8
        .value_kind:     global_buffer
      - .actual_access:  read_only
        .address_space:  global
        .offset:         56
        .size:           8
        .value_kind:     global_buffer
      - .offset:         64
        .size:           4
        .value_kind:     by_value
      - .actual_access:  read_only
        .address_space:  global
        .offset:         72
        .size:           8
        .value_kind:     global_buffer
      - .actual_access:  read_only
        .address_space:  global
        .offset:         80
        .size:           8
        .value_kind:     global_buffer
      - .actual_access:  read_only
        .address_space:  global
        .offset:         88
        .size:           8
        .value_kind:     global_buffer
      - .actual_access:  write_only
        .address_space:  global
        .offset:         96
        .size:           8
        .value_kind:     global_buffer
    .group_segment_fixed_size: 0
    .kernarg_segment_align: 8
    .kernarg_segment_size: 104
    .language:       OpenCL C
    .language_version:
      - 2
      - 0
    .max_flat_workgroup_size: 125
    .name:           fft_rtc_fwd_len250_factors_10_5_5_wgs_125_tpt_25_halfLds_dp_op_CI_CI_unitstride_sbrr_C2R_dirReg
    .private_segment_fixed_size: 0
    .sgpr_count:     32
    .sgpr_spill_count: 0
    .symbol:         fft_rtc_fwd_len250_factors_10_5_5_wgs_125_tpt_25_halfLds_dp_op_CI_CI_unitstride_sbrr_C2R_dirReg.kd
    .uniform_work_group_size: 1
    .uses_dynamic_stack: false
    .vgpr_count:     84
    .vgpr_spill_count: 0
    .wavefront_size: 64
amdhsa.target:   amdgcn-amd-amdhsa--gfx906
amdhsa.version:
  - 1
  - 2
...

	.end_amdgpu_metadata
